;; amdgpu-corpus repo=ROCm/rocFFT kind=compiled arch=gfx906 opt=O3
	.text
	.amdgcn_target "amdgcn-amd-amdhsa--gfx906"
	.amdhsa_code_object_version 6
	.protected	fft_rtc_back_len528_factors_4_4_3_11_wgs_48_tpt_48_halfLds_half_ip_CI_sbrr_dirReg ; -- Begin function fft_rtc_back_len528_factors_4_4_3_11_wgs_48_tpt_48_halfLds_half_ip_CI_sbrr_dirReg
	.globl	fft_rtc_back_len528_factors_4_4_3_11_wgs_48_tpt_48_halfLds_half_ip_CI_sbrr_dirReg
	.p2align	8
	.type	fft_rtc_back_len528_factors_4_4_3_11_wgs_48_tpt_48_halfLds_half_ip_CI_sbrr_dirReg,@function
fft_rtc_back_len528_factors_4_4_3_11_wgs_48_tpt_48_halfLds_half_ip_CI_sbrr_dirReg: ; @fft_rtc_back_len528_factors_4_4_3_11_wgs_48_tpt_48_halfLds_half_ip_CI_sbrr_dirReg
; %bb.0:
	s_load_dwordx2 s[2:3], s[4:5], 0x18
	s_load_dwordx4 s[8:11], s[4:5], 0x0
	s_load_dwordx2 s[14:15], s[4:5], 0x50
	v_mul_u32_u24_e32 v1, 0x556, v0
	v_add_u32_sdwa v5, s6, v1 dst_sel:DWORD dst_unused:UNUSED_PAD src0_sel:DWORD src1_sel:WORD_1
	s_waitcnt lgkmcnt(0)
	s_load_dwordx2 s[12:13], s[2:3], 0x0
	v_cmp_lt_u64_e64 s[0:1], s[10:11], 2
	v_mov_b32_e32 v3, 0
	v_mov_b32_e32 v1, 0
	;; [unrolled: 1-line block ×3, first 2 shown]
	s_and_b64 vcc, exec, s[0:1]
	v_mov_b32_e32 v2, 0
	s_cbranch_vccnz .LBB0_8
; %bb.1:
	s_load_dwordx2 s[0:1], s[4:5], 0x10
	s_add_u32 s6, s2, 8
	s_addc_u32 s7, s3, 0
	v_mov_b32_e32 v1, 0
	v_mov_b32_e32 v2, 0
	s_waitcnt lgkmcnt(0)
	s_add_u32 s16, s0, 8
	s_addc_u32 s17, s1, 0
	s_mov_b64 s[18:19], 1
.LBB0_2:                                ; =>This Inner Loop Header: Depth=1
	s_load_dwordx2 s[20:21], s[16:17], 0x0
                                        ; implicit-def: $vgpr7_vgpr8
	s_waitcnt lgkmcnt(0)
	v_or_b32_e32 v4, s21, v6
	v_cmp_ne_u64_e32 vcc, 0, v[3:4]
	s_and_saveexec_b64 s[0:1], vcc
	s_xor_b64 s[22:23], exec, s[0:1]
	s_cbranch_execz .LBB0_4
; %bb.3:                                ;   in Loop: Header=BB0_2 Depth=1
	v_cvt_f32_u32_e32 v4, s20
	v_cvt_f32_u32_e32 v7, s21
	s_sub_u32 s0, 0, s20
	s_subb_u32 s1, 0, s21
	v_mac_f32_e32 v4, 0x4f800000, v7
	v_rcp_f32_e32 v4, v4
	v_mul_f32_e32 v4, 0x5f7ffffc, v4
	v_mul_f32_e32 v7, 0x2f800000, v4
	v_trunc_f32_e32 v7, v7
	v_mac_f32_e32 v4, 0xcf800000, v7
	v_cvt_u32_f32_e32 v7, v7
	v_cvt_u32_f32_e32 v4, v4
	v_mul_lo_u32 v8, s0, v7
	v_mul_hi_u32 v9, s0, v4
	v_mul_lo_u32 v11, s1, v4
	v_mul_lo_u32 v10, s0, v4
	v_add_u32_e32 v8, v9, v8
	v_add_u32_e32 v8, v8, v11
	v_mul_hi_u32 v9, v4, v10
	v_mul_lo_u32 v11, v4, v8
	v_mul_hi_u32 v13, v4, v8
	v_mul_hi_u32 v12, v7, v10
	v_mul_lo_u32 v10, v7, v10
	v_mul_hi_u32 v14, v7, v8
	v_add_co_u32_e32 v9, vcc, v9, v11
	v_addc_co_u32_e32 v11, vcc, 0, v13, vcc
	v_mul_lo_u32 v8, v7, v8
	v_add_co_u32_e32 v9, vcc, v9, v10
	v_addc_co_u32_e32 v9, vcc, v11, v12, vcc
	v_addc_co_u32_e32 v10, vcc, 0, v14, vcc
	v_add_co_u32_e32 v8, vcc, v9, v8
	v_addc_co_u32_e32 v9, vcc, 0, v10, vcc
	v_add_co_u32_e32 v4, vcc, v4, v8
	v_addc_co_u32_e32 v7, vcc, v7, v9, vcc
	v_mul_lo_u32 v8, s0, v7
	v_mul_hi_u32 v9, s0, v4
	v_mul_lo_u32 v10, s1, v4
	v_mul_lo_u32 v11, s0, v4
	v_add_u32_e32 v8, v9, v8
	v_add_u32_e32 v8, v8, v10
	v_mul_lo_u32 v12, v4, v8
	v_mul_hi_u32 v13, v4, v11
	v_mul_hi_u32 v14, v4, v8
	;; [unrolled: 1-line block ×3, first 2 shown]
	v_mul_lo_u32 v11, v7, v11
	v_mul_hi_u32 v9, v7, v8
	v_add_co_u32_e32 v12, vcc, v13, v12
	v_addc_co_u32_e32 v13, vcc, 0, v14, vcc
	v_mul_lo_u32 v8, v7, v8
	v_add_co_u32_e32 v11, vcc, v12, v11
	v_addc_co_u32_e32 v10, vcc, v13, v10, vcc
	v_addc_co_u32_e32 v9, vcc, 0, v9, vcc
	v_add_co_u32_e32 v8, vcc, v10, v8
	v_addc_co_u32_e32 v9, vcc, 0, v9, vcc
	v_add_co_u32_e32 v4, vcc, v4, v8
	v_addc_co_u32_e32 v9, vcc, v7, v9, vcc
	v_mad_u64_u32 v[7:8], s[0:1], v5, v9, 0
	v_mul_hi_u32 v10, v5, v4
	v_add_co_u32_e32 v11, vcc, v10, v7
	v_addc_co_u32_e32 v12, vcc, 0, v8, vcc
	v_mad_u64_u32 v[7:8], s[0:1], v6, v4, 0
	v_mad_u64_u32 v[9:10], s[0:1], v6, v9, 0
	v_add_co_u32_e32 v4, vcc, v11, v7
	v_addc_co_u32_e32 v4, vcc, v12, v8, vcc
	v_addc_co_u32_e32 v7, vcc, 0, v10, vcc
	v_add_co_u32_e32 v4, vcc, v4, v9
	v_addc_co_u32_e32 v9, vcc, 0, v7, vcc
	v_mul_lo_u32 v10, s21, v4
	v_mul_lo_u32 v11, s20, v9
	v_mad_u64_u32 v[7:8], s[0:1], s20, v4, 0
	v_add3_u32 v8, v8, v11, v10
	v_sub_u32_e32 v10, v6, v8
	v_mov_b32_e32 v11, s21
	v_sub_co_u32_e32 v7, vcc, v5, v7
	v_subb_co_u32_e64 v10, s[0:1], v10, v11, vcc
	v_subrev_co_u32_e64 v11, s[0:1], s20, v7
	v_subbrev_co_u32_e64 v10, s[0:1], 0, v10, s[0:1]
	v_cmp_le_u32_e64 s[0:1], s21, v10
	v_cndmask_b32_e64 v12, 0, -1, s[0:1]
	v_cmp_le_u32_e64 s[0:1], s20, v11
	v_cndmask_b32_e64 v11, 0, -1, s[0:1]
	v_cmp_eq_u32_e64 s[0:1], s21, v10
	v_cndmask_b32_e64 v10, v12, v11, s[0:1]
	v_add_co_u32_e64 v11, s[0:1], 2, v4
	v_addc_co_u32_e64 v12, s[0:1], 0, v9, s[0:1]
	v_add_co_u32_e64 v13, s[0:1], 1, v4
	v_addc_co_u32_e64 v14, s[0:1], 0, v9, s[0:1]
	v_subb_co_u32_e32 v8, vcc, v6, v8, vcc
	v_cmp_ne_u32_e64 s[0:1], 0, v10
	v_cmp_le_u32_e32 vcc, s21, v8
	v_cndmask_b32_e64 v10, v14, v12, s[0:1]
	v_cndmask_b32_e64 v12, 0, -1, vcc
	v_cmp_le_u32_e32 vcc, s20, v7
	v_cndmask_b32_e64 v7, 0, -1, vcc
	v_cmp_eq_u32_e32 vcc, s21, v8
	v_cndmask_b32_e32 v7, v12, v7, vcc
	v_cmp_ne_u32_e32 vcc, 0, v7
	v_cndmask_b32_e64 v7, v13, v11, s[0:1]
	v_cndmask_b32_e32 v8, v9, v10, vcc
	v_cndmask_b32_e32 v7, v4, v7, vcc
.LBB0_4:                                ;   in Loop: Header=BB0_2 Depth=1
	s_andn2_saveexec_b64 s[0:1], s[22:23]
	s_cbranch_execz .LBB0_6
; %bb.5:                                ;   in Loop: Header=BB0_2 Depth=1
	v_cvt_f32_u32_e32 v4, s20
	s_sub_i32 s22, 0, s20
	v_rcp_iflag_f32_e32 v4, v4
	v_mul_f32_e32 v4, 0x4f7ffffe, v4
	v_cvt_u32_f32_e32 v4, v4
	v_mul_lo_u32 v7, s22, v4
	v_mul_hi_u32 v7, v4, v7
	v_add_u32_e32 v4, v4, v7
	v_mul_hi_u32 v4, v5, v4
	v_mul_lo_u32 v7, v4, s20
	v_add_u32_e32 v8, 1, v4
	v_sub_u32_e32 v7, v5, v7
	v_subrev_u32_e32 v9, s20, v7
	v_cmp_le_u32_e32 vcc, s20, v7
	v_cndmask_b32_e32 v7, v7, v9, vcc
	v_cndmask_b32_e32 v4, v4, v8, vcc
	v_add_u32_e32 v8, 1, v4
	v_cmp_le_u32_e32 vcc, s20, v7
	v_cndmask_b32_e32 v7, v4, v8, vcc
	v_mov_b32_e32 v8, v3
.LBB0_6:                                ;   in Loop: Header=BB0_2 Depth=1
	s_or_b64 exec, exec, s[0:1]
	v_mul_lo_u32 v4, v8, s20
	v_mul_lo_u32 v11, v7, s21
	v_mad_u64_u32 v[9:10], s[0:1], v7, s20, 0
	s_load_dwordx2 s[0:1], s[6:7], 0x0
	s_add_u32 s18, s18, 1
	v_add3_u32 v4, v10, v11, v4
	v_sub_co_u32_e32 v5, vcc, v5, v9
	v_subb_co_u32_e32 v4, vcc, v6, v4, vcc
	s_waitcnt lgkmcnt(0)
	v_mul_lo_u32 v4, s0, v4
	v_mul_lo_u32 v6, s1, v5
	v_mad_u64_u32 v[1:2], s[0:1], s0, v5, v[1:2]
	s_addc_u32 s19, s19, 0
	s_add_u32 s6, s6, 8
	v_add3_u32 v2, v6, v2, v4
	v_mov_b32_e32 v4, s10
	v_mov_b32_e32 v5, s11
	s_addc_u32 s7, s7, 0
	v_cmp_ge_u64_e32 vcc, s[18:19], v[4:5]
	s_add_u32 s16, s16, 8
	s_addc_u32 s17, s17, 0
	s_cbranch_vccnz .LBB0_9
; %bb.7:                                ;   in Loop: Header=BB0_2 Depth=1
	v_mov_b32_e32 v5, v7
	v_mov_b32_e32 v6, v8
	s_branch .LBB0_2
.LBB0_8:
	v_mov_b32_e32 v8, v6
	v_mov_b32_e32 v7, v5
.LBB0_9:
	s_lshl_b64 s[0:1], s[10:11], 3
	s_add_u32 s0, s2, s0
	s_addc_u32 s1, s3, s1
	s_load_dwordx2 s[2:3], s[0:1], 0x0
	s_load_dwordx2 s[6:7], s[4:5], 0x20
                                        ; implicit-def: $sgpr4
                                        ; implicit-def: $sgpr5
	s_waitcnt lgkmcnt(0)
	v_mad_u64_u32 v[1:2], s[0:1], s2, v7, v[1:2]
	s_mov_b32 s0, 0x5555556
	v_mul_lo_u32 v3, s2, v8
	v_mul_lo_u32 v4, s3, v7
	v_mul_hi_u32 v5, v0, s0
	v_cmp_gt_u64_e32 vcc, s[6:7], v[7:8]
	v_cmp_le_u64_e64 s[0:1], s[6:7], v[7:8]
	v_add3_u32 v2, v4, v2, v3
	v_mul_u32_u24_e32 v3, 48, v5
	v_sub_u32_e32 v6, v0, v3
	v_add_u32_e32 v7, 48, v6
	s_and_saveexec_b64 s[2:3], s[0:1]
	s_xor_b64 s[0:1], exec, s[2:3]
; %bb.10:
	v_add_u32_e32 v7, 48, v6
	s_mov_b32 s5, 0
	s_mov_b32 s4, 0
; %bb.11:
	s_or_saveexec_b64 s[2:3], s[0:1]
	v_lshlrev_b64 v[3:4], 2, v[1:2]
	v_mov_b32_e32 v0, s5
	v_mov_b32_e32 v5, s4
	v_mov_b32_e32 v18, s5
	v_mov_b32_e32 v14, s5
	v_mov_b32_e32 v17, s5
                                        ; implicit-def: $vgpr21
                                        ; implicit-def: $vgpr1
                                        ; implicit-def: $vgpr22
                                        ; implicit-def: $vgpr2
                                        ; implicit-def: $vgpr23
                                        ; implicit-def: $vgpr10
                                        ; implicit-def: $vgpr15
                                        ; implicit-def: $vgpr11
                                        ; implicit-def: $vgpr24
                                        ; implicit-def: $vgpr8
                                        ; implicit-def: $vgpr25
                                        ; implicit-def: $vgpr9
                                        ; implicit-def: $vgpr30
                                        ; implicit-def: $vgpr12
                                        ; implicit-def: $vgpr27
                                        ; implicit-def: $vgpr13
                                        ; implicit-def: $vgpr16
                                        ; implicit-def: $vgpr19
                                        ; implicit-def: $vgpr26
                                        ; implicit-def: $vgpr20
	s_xor_b64 exec, exec, s[2:3]
	s_cbranch_execz .LBB0_15
; %bb.12:
	v_mad_u64_u32 v[0:1], s[0:1], s12, v6, 0
	v_add_u32_e32 v11, 0x84, v6
	v_mad_u64_u32 v[8:9], s[0:1], s12, v11, 0
	v_mad_u64_u32 v[1:2], s[0:1], s13, v6, v[1:2]
	v_mov_b32_e32 v10, s15
	v_add_co_u32_e64 v5, s[0:1], s14, v3
	v_mov_b32_e32 v2, v9
	v_addc_co_u32_e64 v15, s[0:1], v10, v4, s[0:1]
	v_mad_u64_u32 v[9:10], s[0:1], s13, v11, v[2:3]
	v_add_u32_e32 v12, 0x108, v6
	v_mad_u64_u32 v[10:11], s[0:1], s12, v12, 0
	v_lshlrev_b64 v[0:1], 2, v[0:1]
	v_mov_b32_e32 v14, 0
	v_add_co_u32_e64 v16, s[0:1], v5, v0
	v_mov_b32_e32 v2, v11
	v_addc_co_u32_e64 v17, s[0:1], v15, v1, s[0:1]
	v_lshlrev_b64 v[0:1], 2, v[8:9]
	v_mad_u64_u32 v[8:9], s[0:1], s13, v12, v[2:3]
	v_add_u32_e32 v9, 0x18c, v6
	v_mad_u64_u32 v[12:13], s[0:1], s12, v9, 0
	v_add_co_u32_e64 v18, s[0:1], v5, v0
	v_mov_b32_e32 v2, v13
	v_addc_co_u32_e64 v19, s[0:1], v15, v1, s[0:1]
	v_mov_b32_e32 v11, v8
	v_mad_u64_u32 v[8:9], s[0:1], s13, v9, v[2:3]
	v_lshlrev_b64 v[0:1], 2, v[10:11]
	v_mad_u64_u32 v[9:10], s[0:1], s12, v7, 0
	v_add_co_u32_e64 v20, s[0:1], v5, v0
	v_mov_b32_e32 v2, v10
	v_addc_co_u32_e64 v21, s[0:1], v15, v1, s[0:1]
	v_mov_b32_e32 v13, v8
	v_mad_u64_u32 v[10:11], s[0:1], s13, v7, v[2:3]
	v_add_u32_e32 v8, 0xb4, v6
	v_lshlrev_b64 v[0:1], 2, v[12:13]
	v_mad_u64_u32 v[11:12], s[0:1], s12, v8, 0
	v_add_co_u32_e64 v22, s[0:1], v5, v0
	v_mov_b32_e32 v2, v12
	v_addc_co_u32_e64 v23, s[0:1], v15, v1, s[0:1]
	v_lshlrev_b64 v[0:1], 2, v[9:10]
	v_mad_u64_u32 v[8:9], s[0:1], s13, v8, v[2:3]
	v_add_u32_e32 v13, 0x138, v6
	v_mad_u64_u32 v[9:10], s[0:1], s12, v13, 0
	v_add_co_u32_e64 v24, s[0:1], v5, v0
	v_mov_b32_e32 v12, v8
	v_mov_b32_e32 v2, v10
	v_addc_co_u32_e64 v25, s[0:1], v15, v1, s[0:1]
	v_lshlrev_b64 v[0:1], 2, v[11:12]
	v_mad_u64_u32 v[10:11], s[0:1], s13, v13, v[2:3]
	v_add_u32_e32 v8, 0x1bc, v6
	v_mad_u64_u32 v[11:12], s[0:1], s12, v8, 0
	v_add_co_u32_e64 v26, s[0:1], v5, v0
	v_mov_b32_e32 v2, v12
	v_addc_co_u32_e64 v27, s[0:1], v15, v1, s[0:1]
	v_lshlrev_b64 v[0:1], 2, v[9:10]
	v_mad_u64_u32 v[8:9], s[0:1], s13, v8, v[2:3]
	v_add_co_u32_e64 v28, s[0:1], v5, v0
	v_mov_b32_e32 v12, v8
	v_addc_co_u32_e64 v29, s[0:1], v15, v1, s[0:1]
	v_lshlrev_b64 v[0:1], 2, v[11:12]
	v_add_co_u32_e64 v30, s[0:1], v5, v0
	v_addc_co_u32_e64 v31, s[0:1], v15, v1, s[0:1]
	global_load_dword v1, v[16:17], off
	global_load_dword v2, v[18:19], off
	;; [unrolled: 1-line block ×8, first 2 shown]
	v_cmp_gt_u32_e64 s[0:1], 36, v6
	v_mov_b32_e32 v17, 0
	v_mov_b32_e32 v18, 0
	;; [unrolled: 1-line block ×3, first 2 shown]
                                        ; implicit-def: $vgpr20
                                        ; implicit-def: $vgpr26
                                        ; implicit-def: $vgpr19
                                        ; implicit-def: $vgpr16
	s_and_saveexec_b64 s[4:5], s[0:1]
	s_cbranch_execz .LBB0_14
; %bb.13:
	v_add_u32_e32 v14, 0x60, v6
	v_mad_u64_u32 v[16:17], s[0:1], s12, v14, 0
	v_add_u32_e32 v22, 0xe4, v6
	v_mad_u64_u32 v[18:19], s[0:1], s12, v22, 0
	v_mov_b32_e32 v0, v17
	s_waitcnt vmcnt(7)
	v_mad_u64_u32 v[20:21], s[0:1], s13, v14, v[0:1]
	v_mov_b32_e32 v0, v19
	v_add_u32_e32 v14, 0x168, v6
	v_mov_b32_e32 v17, v20
	v_mad_u64_u32 v[19:20], s[0:1], s13, v22, v[0:1]
	v_mad_u64_u32 v[20:21], s[0:1], s12, v14, 0
	v_lshlrev_b64 v[16:17], 2, v[16:17]
	v_add_co_u32_e64 v22, s[0:1], v5, v16
	v_mov_b32_e32 v0, v21
	v_addc_co_u32_e64 v23, s[0:1], v15, v17, s[0:1]
	v_lshlrev_b64 v[16:17], 2, v[18:19]
	v_mad_u64_u32 v[18:19], s[0:1], s13, v14, v[0:1]
	v_add_u32_e32 v14, 0x1ec, v6
	v_mad_u64_u32 v[24:25], s[0:1], s12, v14, 0
	v_add_co_u32_e64 v26, s[0:1], v5, v16
	v_mov_b32_e32 v0, v25
	v_addc_co_u32_e64 v27, s[0:1], v15, v17, s[0:1]
	v_mov_b32_e32 v21, v18
	v_mad_u64_u32 v[18:19], s[0:1], s13, v14, v[0:1]
	v_lshlrev_b64 v[16:17], 2, v[20:21]
	v_add_co_u32_e64 v28, s[0:1], v5, v16
	v_mov_b32_e32 v25, v18
	v_addc_co_u32_e64 v29, s[0:1], v15, v17, s[0:1]
	v_lshlrev_b64 v[16:17], 2, v[24:25]
	v_add_co_u32_e64 v14, s[0:1], v5, v16
	v_addc_co_u32_e64 v15, s[0:1], v15, v17, s[0:1]
	global_load_dword v18, v[22:23], off
	global_load_dword v17, v[26:27], off
	global_load_dword v19, v[28:29], off
	global_load_dword v20, v[14:15], off
	s_waitcnt vmcnt(3)
	v_lshrrev_b32_e32 v0, 16, v18
	s_waitcnt vmcnt(2)
	v_lshrrev_b32_e32 v14, 16, v17
	;; [unrolled: 2-line block ×4, first 2 shown]
.LBB0_14:
	s_or_b64 exec, exec, s[4:5]
	s_waitcnt vmcnt(7)
	v_lshrrev_b32_e32 v21, 16, v1
	s_waitcnt vmcnt(6)
	v_lshrrev_b32_e32 v22, 16, v2
	;; [unrolled: 2-line block ×8, first 2 shown]
	v_mov_b32_e32 v5, v6
.LBB0_15:
	s_or_b64 exec, exec, s[2:3]
	v_sub_f16_e32 v10, v1, v10
	v_sub_f16_e32 v31, v2, v11
	v_fma_f16 v1, v1, 2.0, -v10
	v_sub_f16_e32 v33, v22, v15
	v_fma_f16 v2, v2, 2.0, -v31
	v_sub_f16_e32 v11, v8, v12
	v_sub_f16_e32 v32, v9, v13
	;; [unrolled: 1-line block ×3, first 2 shown]
	v_add_f16_e32 v28, v10, v33
	v_fma_f16 v8, v8, 2.0, -v11
	v_sub_f16_e32 v35, v25, v27
	v_fma_f16 v9, v9, 2.0, -v32
	v_fma_f16 v1, v1, 2.0, -v2
	;; [unrolled: 1-line block ×3, first 2 shown]
	v_sub_f16_e32 v12, v8, v9
	v_add_f16_e32 v13, v11, v35
	v_sub_f16_e32 v19, v18, v19
	v_sub_f16_e32 v9, v17, v20
	v_fma_f16 v8, v8, 2.0, -v12
	v_fma_f16 v27, v11, 2.0, -v13
	;; [unrolled: 1-line block ×3, first 2 shown]
	v_sub_f16_e32 v36, v14, v26
	v_fma_f16 v11, v17, 2.0, -v9
	v_lshl_add_u32 v34, v6, 3, 0
	v_pack_b32_f16 v2, v2, v28
	v_pack_b32_f16 v1, v1, v10
	v_sub_f16_e32 v11, v15, v11
	v_add_f16_e32 v17, v19, v36
	ds_write2_b32 v34, v1, v2 offset1:1
	v_lshl_add_u32 v1, v7, 3, 0
	v_pack_b32_f16 v2, v12, v13
	v_pack_b32_f16 v8, v8, v27
	v_add_u32_e32 v10, 0x60, v6
	v_fma_f16 v15, v15, 2.0, -v11
	v_fma_f16 v18, v19, 2.0, -v17
	ds_write2_b32 v1, v8, v2 offset1:1
	v_cmp_gt_u32_e64 s[0:1], 36, v6
	v_lshl_add_u32 v2, v10, 3, 0
	s_and_saveexec_b64 s[2:3], s[0:1]
	s_cbranch_execz .LBB0_17
; %bb.16:
	s_mov_b32 s4, 0x5040100
	v_perm_b32 v8, v17, v11, s4
	v_perm_b32 v12, v18, v15, s4
	ds_write2_b32 v2, v12, v8 offset1:1
.LBB0_17:
	s_or_b64 exec, exec, s[2:3]
	v_mad_i32_i24 v8, v6, -6, v34
	v_mad_i32_i24 v12, v7, -6, v1
	s_waitcnt lgkmcnt(0)
	; wave barrier
	s_waitcnt lgkmcnt(0)
	ds_read_u16 v19, v8
	ds_read_u16 v26, v8 offset:264
	ds_read_u16 v20, v12
	ds_read_u16 v27, v8 offset:888
	ds_read_u16 v28, v8 offset:792
	;; [unrolled: 1-line block ×5, first 2 shown]
	v_mul_i32_i24_e32 v8, -6, v6
	v_add_u32_e32 v8, v34, v8
	s_and_saveexec_b64 s[2:3], s[0:1]
	s_cbranch_execz .LBB0_19
; %bb.18:
	ds_read_u16 v15, v8 offset:192
	ds_read_u16 v18, v8 offset:456
	;; [unrolled: 1-line block ×4, first 2 shown]
.LBB0_19:
	s_or_b64 exec, exec, s[2:3]
	v_sub_f16_e32 v23, v21, v23
	v_fma_f16 v21, v21, 2.0, -v23
	v_fma_f16 v22, v22, 2.0, -v33
	v_sub_f16_e32 v33, v23, v31
	v_sub_f16_e32 v30, v24, v30
	;; [unrolled: 1-line block ×4, first 2 shown]
	v_fma_f16 v24, v24, 2.0, -v30
	v_fma_f16 v25, v25, 2.0, -v35
	v_fma_f16 v0, v0, 2.0, -v31
	v_fma_f16 v14, v14, 2.0, -v36
	v_fma_f16 v21, v21, 2.0, -v22
	v_fma_f16 v23, v23, 2.0, -v33
	v_sub_f16_e32 v25, v24, v25
	v_sub_f16_e32 v32, v30, v32
	;; [unrolled: 1-line block ×3, first 2 shown]
	v_fma_f16 v24, v24, 2.0, -v25
	v_fma_f16 v35, v30, 2.0, -v32
	;; [unrolled: 1-line block ×3, first 2 shown]
	v_sub_f16_e32 v30, v31, v9
	v_pack_b32_f16 v0, v21, v23
	v_pack_b32_f16 v9, v22, v33
	v_mul_i32_i24_e32 v37, -6, v7
	v_fma_f16 v31, v31, 2.0, -v30
	s_waitcnt lgkmcnt(0)
	; wave barrier
	s_waitcnt lgkmcnt(0)
	ds_write2_b32 v34, v0, v9 offset1:1
	v_pack_b32_f16 v0, v24, v35
	v_pack_b32_f16 v9, v25, v32
	ds_write2_b32 v1, v0, v9 offset1:1
	s_and_saveexec_b64 s[2:3], s[0:1]
	s_cbranch_execz .LBB0_21
; %bb.20:
	s_mov_b32 s4, 0x5040100
	v_perm_b32 v0, v30, v16, s4
	v_perm_b32 v9, v31, v14, s4
	ds_write2_b32 v2, v9, v0 offset1:1
.LBB0_21:
	s_or_b64 exec, exec, s[2:3]
	s_waitcnt lgkmcnt(0)
	; wave barrier
	s_waitcnt lgkmcnt(0)
	ds_read_u16 v34, v8 offset:264
	v_add_u32_e32 v9, v1, v37
	ds_read_u16 v35, v8 offset:888
	ds_read_u16 v36, v8 offset:792
	;; [unrolled: 1-line block ×5, first 2 shown]
	ds_read_u16 v23, v8
	ds_read_u16 v22, v9
	v_lshlrev_b32_e32 v32, 2, v6
	v_lshlrev_b32_e32 v33, 2, v7
	s_and_saveexec_b64 s[2:3], s[0:1]
	s_cbranch_execz .LBB0_23
; %bb.22:
	ds_read_u16 v14, v8 offset:192
	ds_read_u16 v31, v8 offset:456
	;; [unrolled: 1-line block ×4, first 2 shown]
.LBB0_23:
	s_or_b64 exec, exec, s[2:3]
	v_and_b32_e32 v21, 3, v6
	v_mul_u32_u24_e32 v0, 3, v21
	v_lshlrev_b32_e32 v0, 2, v0
	global_load_dwordx3 v[0:2], v0, s[8:9]
	s_movk_i32 s2, 0xf0
	s_movk_i32 s3, 0x1f0
	v_and_or_b32 v32, v32, s2, v21
	v_and_or_b32 v38, v33, s3, v21
	v_lshl_add_u32 v33, v32, 1, 0
	v_lshl_add_u32 v32, v38, 1, 0
	s_waitcnt lgkmcnt(0)
	; wave barrier
	s_waitcnt vmcnt(0) lgkmcnt(0)
	v_mul_f16_sdwa v38, v34, v0 dst_sel:DWORD dst_unused:UNUSED_PAD src0_sel:DWORD src1_sel:WORD_1
	v_mul_f16_sdwa v39, v26, v0 dst_sel:DWORD dst_unused:UNUSED_PAD src0_sel:DWORD src1_sel:WORD_1
	;; [unrolled: 1-line block ×15, first 2 shown]
	v_fma_f16 v26, v26, v0, v38
	v_fma_f16 v38, v34, v0, -v39
	v_fma_f16 v28, v28, v2, v41
	v_fma_f16 v39, v36, v2, -v42
	;; [unrolled: 2-line block ×4, first 2 shown]
	v_fma_f16 v37, v13, v1, v40
	v_fma_f16 v40, v12, v1, v45
	;; [unrolled: 1-line block ×3, first 2 shown]
	v_fma_f16 v34, v31, v0, -v49
	v_fma_f16 v0, v11, v1, v50
	v_fma_f16 v17, v17, v2, v51
	v_fma_f16 v2, v30, v2, -v52
	v_sub_f16_e32 v30, v19, v37
	v_sub_f16_e32 v41, v26, v28
	;; [unrolled: 1-line block ×9, first 2 shown]
	v_fma_f16 v19, v19, 2.0, -v30
	v_fma_f16 v17, v26, 2.0, -v41
	v_add_f16_e32 v26, v30, v43
	v_fma_f16 v20, v20, 2.0, -v28
	v_fma_f16 v27, v29, 2.0, -v37
	;; [unrolled: 1-line block ×4, first 2 shown]
	v_add_f16_e32 v15, v0, v39
	v_add_f16_e32 v29, v28, v42
	v_sub_f16_e32 v31, v19, v17
	v_fma_f16 v30, v30, 2.0, -v26
	v_sub_f16_e32 v27, v20, v27
	v_sub_f16_e32 v17, v2, v18
	v_fma_f16 v0, v0, 2.0, -v15
	v_lshlrev_b32_e32 v40, 2, v10
	v_fma_f16 v28, v28, 2.0, -v29
	ds_write_b16 v33, v26 offset:24
	v_fma_f16 v18, v19, 2.0, -v31
	v_fma_f16 v19, v20, 2.0, -v27
	ds_write_b16 v33, v30 offset:8
	ds_write_b16 v33, v31 offset:16
	ds_write_b16 v33, v18
	ds_write_b16 v32, v19
	ds_write_b16 v32, v28 offset:8
	ds_write_b16 v32, v27 offset:16
	;; [unrolled: 1-line block ×3, first 2 shown]
	s_and_saveexec_b64 s[2:3], s[0:1]
	s_cbranch_execz .LBB0_25
; %bb.24:
	s_movk_i32 s4, 0x3f0
	v_and_or_b32 v18, v40, s4, v21
	v_fma_f16 v2, v2, 2.0, -v17
	v_lshl_add_u32 v18, v18, 1, 0
	ds_write_b16 v18, v2
	ds_write_b16 v18, v0 offset:8
	ds_write_b16 v18, v17 offset:16
	;; [unrolled: 1-line block ×3, first 2 shown]
.LBB0_25:
	s_or_b64 exec, exec, s[2:3]
	s_waitcnt lgkmcnt(0)
	; wave barrier
	s_waitcnt lgkmcnt(0)
	ds_read_u16 v28, v8 offset:352
	ds_read_u16 v27, v8 offset:448
	;; [unrolled: 1-line block ×3, first 2 shown]
	v_lshl_add_u32 v2, v6, 1, 0
	ds_read_u16 v31, v8 offset:704
	ds_read_u16 v29, v8 offset:544
	ds_read_u16 v20, v8
	ds_read_u16 v19, v9
	ds_read_u16 v18, v2 offset:192
	ds_read_u16 v30, v8 offset:896
	v_cmp_gt_u32_e64 s[2:3], 32, v6
	s_and_saveexec_b64 s[4:5], s[2:3]
	s_cbranch_execz .LBB0_27
; %bb.26:
	ds_read_u16 v0, v2 offset:288
	ds_read_u16 v17, v2 offset:640
	;; [unrolled: 1-line block ×3, first 2 shown]
.LBB0_27:
	s_or_b64 exec, exec, s[4:5]
	v_mul_f16_sdwa v13, v13, v1 dst_sel:DWORD dst_unused:UNUSED_PAD src0_sel:DWORD src1_sel:WORD_1
	v_fma_f16 v13, v25, v1, -v13
	v_mul_f16_sdwa v12, v12, v1 dst_sel:DWORD dst_unused:UNUSED_PAD src0_sel:DWORD src1_sel:WORD_1
	v_mul_f16_sdwa v11, v11, v1 dst_sel:DWORD dst_unused:UNUSED_PAD src0_sel:DWORD src1_sel:WORD_1
	v_fma_f16 v12, v24, v1, -v12
	v_fma_f16 v1, v16, v1, -v11
	v_sub_f16_e32 v11, v23, v13
	v_sub_f16_e32 v24, v11, v41
	v_fma_f16 v13, v23, 2.0, -v11
	v_fma_f16 v16, v38, 2.0, -v43
	;; [unrolled: 1-line block ×3, first 2 shown]
	v_sub_f16_e32 v11, v22, v12
	v_sub_f16_e32 v23, v13, v16
	v_fma_f16 v12, v22, 2.0, -v11
	v_fma_f16 v16, v36, 2.0, -v42
	v_sub_f16_e32 v37, v11, v37
	v_sub_f16_e32 v1, v14, v1
	;; [unrolled: 1-line block ×3, first 2 shown]
	v_fma_f16 v38, v11, 2.0, -v37
	v_fma_f16 v11, v14, 2.0, -v1
	;; [unrolled: 1-line block ×3, first 2 shown]
	v_sub_f16_e32 v16, v1, v35
	v_fma_f16 v13, v13, 2.0, -v23
	v_sub_f16_e32 v22, v11, v14
	v_fma_f16 v1, v1, 2.0, -v16
	v_fma_f16 v12, v12, 2.0, -v36
	s_waitcnt lgkmcnt(0)
	; wave barrier
	s_waitcnt lgkmcnt(0)
	ds_write_b16 v33, v13
	ds_write_b16 v33, v25 offset:8
	ds_write_b16 v33, v23 offset:16
	;; [unrolled: 1-line block ×3, first 2 shown]
	ds_write_b16 v32, v12
	ds_write_b16 v32, v38 offset:8
	ds_write_b16 v32, v36 offset:16
	;; [unrolled: 1-line block ×3, first 2 shown]
	s_and_saveexec_b64 s[4:5], s[0:1]
	s_cbranch_execz .LBB0_29
; %bb.28:
	s_movk_i32 s0, 0x3f0
	v_and_or_b32 v12, v40, s0, v21
	v_fma_f16 v11, v11, 2.0, -v22
	v_lshl_add_u32 v12, v12, 1, 0
	ds_write_b16 v12, v11
	ds_write_b16 v12, v1 offset:8
	ds_write_b16 v12, v22 offset:16
	;; [unrolled: 1-line block ×3, first 2 shown]
.LBB0_29:
	s_or_b64 exec, exec, s[4:5]
	s_waitcnt lgkmcnt(0)
	; wave barrier
	s_waitcnt lgkmcnt(0)
	ds_read_u16 v25, v8 offset:352
	ds_read_u16 v23, v8 offset:448
	;; [unrolled: 1-line block ×5, first 2 shown]
	ds_read_u16 v14, v8
	ds_read_u16 v13, v9
	ds_read_u16 v12, v2 offset:192
	ds_read_u16 v32, v8 offset:896
	s_and_saveexec_b64 s[0:1], s[2:3]
	s_cbranch_execz .LBB0_31
; %bb.30:
	ds_read_u16 v1, v2 offset:288
	ds_read_u16 v22, v2 offset:640
	;; [unrolled: 1-line block ×3, first 2 shown]
.LBB0_31:
	s_or_b64 exec, exec, s[0:1]
	v_and_b32_e32 v11, 15, v6
	v_lshlrev_b32_e32 v34, 3, v11
	global_load_dwordx2 v[41:42], v34, s[8:9] offset:48
	v_lshrrev_b32_e32 v7, 4, v7
	v_mul_lo_u32 v7, v7, 48
	v_lshrrev_b32_e32 v34, 4, v6
	v_lshrrev_b32_e32 v10, 4, v10
	v_mul_u32_u24_e32 v34, 48, v34
	v_mul_u32_u24_e32 v10, 48, v10
	v_or_b32_e32 v34, v34, v11
	v_or_b32_e32 v10, v10, v11
	;; [unrolled: 1-line block ×3, first 2 shown]
	v_lshl_add_u32 v35, v34, 1, 0
	v_lshl_add_u32 v34, v10, 1, 0
	v_lshl_add_u32 v36, v7, 1, 0
	v_add_u32_e32 v43, 0x90, v6
	s_mov_b32 s4, 0xbaee
	s_movk_i32 s5, 0x3aee
	s_waitcnt lgkmcnt(0)
	; wave barrier
	s_waitcnt vmcnt(0) lgkmcnt(0)
	v_mul_f16_sdwa v7, v25, v41 dst_sel:DWORD dst_unused:UNUSED_PAD src0_sel:DWORD src1_sel:WORD_1
	v_mul_f16_sdwa v10, v28, v41 dst_sel:DWORD dst_unused:UNUSED_PAD src0_sel:DWORD src1_sel:WORD_1
	;; [unrolled: 1-line block ×15, first 2 shown]
	v_fma_f16 v37, v28, v41, v7
	v_fma_f16 v39, v25, v41, -v10
	v_fma_f16 v38, v31, v42, v38
	v_fma_f16 v25, v27, v41, v44
	;; [unrolled: 1-line block ×5, first 2 shown]
	v_mul_f16_sdwa v52, v22, v41 dst_sel:DWORD dst_unused:UNUSED_PAD src0_sel:DWORD src1_sel:WORD_1
	v_fma_f16 v40, v33, v42, -v40
	v_fma_f16 v31, v23, v41, -v45
	;; [unrolled: 1-line block ×6, first 2 shown]
	v_fma_f16 v22, v15, v42, v54
	v_fma_f16 v24, v16, v42, -v55
	v_add_f16_e32 v15, v20, v37
	v_add_f16_e32 v16, v37, v38
	;; [unrolled: 1-line block ×5, first 2 shown]
	v_fma_f16 v21, v17, v41, v52
	v_sub_f16_e32 v17, v39, v40
	v_sub_f16_e32 v32, v31, v33
	v_add_f16_e32 v41, v18, v7
	v_sub_f16_e32 v44, v26, v28
	v_add_f16_e32 v15, v15, v38
	v_fma_f16 v16, v16, -0.5, v20
	v_add_f16_e32 v20, v29, v27
	v_fma_f16 v19, v30, -0.5, v19
	v_fma_f16 v18, v42, -0.5, v18
	v_add_f16_e32 v29, v41, v10
	v_fma_f16 v30, v17, s4, v16
	v_fma_f16 v16, v17, s5, v16
	;; [unrolled: 1-line block ×6, first 2 shown]
	ds_write_b16 v35, v15
	ds_write_b16 v35, v30 offset:32
	ds_write_b16 v35, v16 offset:64
	ds_write_b16 v36, v20
	ds_write_b16 v36, v17 offset:32
	ds_write_b16 v36, v19 offset:64
	;; [unrolled: 3-line block ×3, first 2 shown]
	v_lshrrev_b32_e32 v20, 4, v43
	s_and_saveexec_b64 s[0:1], s[2:3]
	s_cbranch_execz .LBB0_33
; %bb.32:
	v_mul_u32_u24_e32 v15, 48, v20
	v_add_f16_e32 v16, v21, v22
	v_or_b32_e32 v15, v15, v11
	v_fma_f16 v16, v16, -0.5, v0
	v_add_f16_e32 v0, v0, v21
	v_lshl_add_u32 v15, v15, 1, 0
	v_sub_f16_e32 v17, v23, v24
	v_add_f16_e32 v0, v0, v22
	v_fma_f16 v18, v17, s5, v16
	v_fma_f16 v16, v17, s4, v16
	ds_write_b16 v15, v0
	ds_write_b16 v15, v16 offset:32
	ds_write_b16 v15, v18 offset:64
.LBB0_33:
	s_or_b64 exec, exec, s[0:1]
	v_add_f16_e32 v0, v14, v39
	v_add_f16_e32 v29, v0, v40
	v_add_f16_e32 v0, v39, v40
	v_fma_f16 v0, v0, -0.5, v14
	v_sub_f16_e32 v14, v37, v38
	v_fma_f16 v30, v14, s5, v0
	v_fma_f16 v32, v14, s4, v0
	v_add_f16_e32 v0, v13, v31
	v_add_f16_e32 v37, v0, v33
	v_add_f16_e32 v0, v31, v33
	v_fma_f16 v0, v0, -0.5, v13
	v_sub_f16_e32 v13, v25, v27
	v_fma_f16 v25, v13, s5, v0
	v_fma_f16 v27, v13, s4, v0
	;; [unrolled: 7-line block ×3, first 2 shown]
	s_waitcnt lgkmcnt(0)
	; wave barrier
	s_waitcnt lgkmcnt(0)
	ds_read_u16 v14, v2 offset:192
	ds_read_u16 v12, v8 offset:384
	ds_read_u16 v7, v8 offset:480
	ds_read_u16 v10, v8 offset:576
	ds_read_u16 v13, v8 offset:672
	ds_read_u16 v0, v8
	ds_read_u16 v17, v9
	ds_read_u16 v15, v2 offset:288
	ds_read_u16 v16, v8 offset:768
	;; [unrolled: 1-line block ×4, first 2 shown]
	s_waitcnt lgkmcnt(0)
	; wave barrier
	s_waitcnt lgkmcnt(0)
	ds_write_b16 v35, v29
	ds_write_b16 v35, v30 offset:32
	ds_write_b16 v35, v32 offset:64
	ds_write_b16 v36, v37
	ds_write_b16 v36, v25 offset:32
	ds_write_b16 v36, v27 offset:64
	;; [unrolled: 3-line block ×3, first 2 shown]
	s_and_saveexec_b64 s[0:1], s[2:3]
	s_cbranch_execz .LBB0_35
; %bb.34:
	v_add_f16_e32 v25, v1, v23
	v_add_f16_e32 v23, v23, v24
	v_mul_u32_u24_e32 v20, 48, v20
	v_fma_f16 v1, v23, -0.5, v1
	v_sub_f16_e32 v21, v21, v22
	s_movk_i32 s2, 0x3aee
	v_or_b32_e32 v11, v20, v11
	v_add_f16_e32 v25, v25, v24
	v_fma_f16 v22, v21, s2, v1
	s_mov_b32 s2, 0xbaee
	v_lshl_add_u32 v11, v11, 1, 0
	v_fma_f16 v1, v21, s2, v1
	ds_write_b16 v11, v25
	ds_write_b16 v11, v22 offset:32
	ds_write_b16 v11, v1 offset:64
.LBB0_35:
	s_or_b64 exec, exec, s[0:1]
	s_waitcnt lgkmcnt(0)
	; wave barrier
	s_waitcnt lgkmcnt(0)
	s_and_saveexec_b64 s[0:1], vcc
	s_cbranch_execz .LBB0_37
; %bb.36:
	v_mul_u32_u24_e32 v1, 10, v6
	v_lshlrev_b32_e32 v1, 2, v1
	global_load_dwordx4 v[20:23], v1, s[8:9] offset:176
	global_load_dwordx2 v[28:29], v1, s[8:9] offset:208
	global_load_dwordx4 v[24:27], v1, s[8:9] offset:192
	ds_read_u16 v1, v2 offset:192
	ds_read_u16 v6, v9
	ds_read_u16 v2, v2 offset:288
	ds_read_u16 v9, v8
	ds_read_u16 v11, v8 offset:384
	ds_read_u16 v30, v8 offset:480
	;; [unrolled: 1-line block ×7, first 2 shown]
	s_movk_i32 s0, 0x3abb
	s_movk_i32 s1, 0x36a6
	s_mov_b32 s2, 0xb08e
	s_mov_b32 s3, 0xb93d
	;; [unrolled: 1-line block ×3, first 2 shown]
	s_waitcnt vmcnt(2)
	v_lshrrev_b32_e32 v35, 16, v20
	v_mul_f16_e32 v39, v17, v20
	s_waitcnt vmcnt(1)
	v_lshrrev_b32_e32 v41, 16, v29
	v_mul_f16_e32 v42, v19, v29
	v_lshrrev_b32_e32 v36, 16, v21
	v_lshrrev_b32_e32 v37, 16, v22
	;; [unrolled: 1-line block ×3, first 2 shown]
	v_mul_f16_e32 v43, v14, v21
	v_mul_f16_e32 v44, v18, v28
	;; [unrolled: 1-line block ×3, first 2 shown]
	s_waitcnt vmcnt(0)
	v_lshrrev_b32_e32 v47, 16, v25
	s_waitcnt lgkmcnt(9)
	v_fma_f16 v39, v6, v35, v39
	s_waitcnt lgkmcnt(4)
	v_fma_f16 v42, v31, v41, v42
	v_mul_f16_e32 v19, v19, v41
	v_mul_f16_e32 v17, v17, v35
	v_lshrrev_b32_e32 v49, 16, v27
	v_mul_f16_e32 v50, v16, v27
	v_mul_f16_e32 v54, v10, v25
	v_fma_f16 v35, v1, v36, v43
	s_waitcnt lgkmcnt(3)
	v_fma_f16 v41, v32, v40, v44
	v_mul_f16_e32 v18, v18, v40
	v_mul_f16_e32 v14, v14, v36
	v_fma_f16 v36, v2, v37, v45
	v_mul_f16_e32 v10, v10, v47
	v_sub_f16_e32 v45, v39, v42
	v_fma_f16 v19, v31, v29, -v19
	v_fma_f16 v6, v6, v20, -v17
	v_lshrrev_b32_e32 v38, 16, v23
	v_lshrrev_b32_e32 v48, 16, v26
	v_mul_f16_e32 v51, v12, v23
	v_mul_f16_e32 v52, v13, v26
	s_waitcnt lgkmcnt(2)
	v_fma_f16 v40, v33, v49, v50
	v_mul_f16_e32 v16, v16, v49
	v_mul_f16_e32 v15, v15, v37
	s_waitcnt lgkmcnt(0)
	v_fma_f16 v44, v8, v47, v54
	v_sub_f16_e32 v17, v35, v41
	v_fma_f16 v18, v32, v28, -v18
	v_fma_f16 v1, v1, v21, -v14
	;; [unrolled: 1-line block ×3, first 2 shown]
	v_mul_f16_e32 v10, 0xb853, v45
	v_add_f16_e32 v20, v6, v19
	v_lshrrev_b32_e32 v46, 16, v24
	v_mul_f16_e32 v53, v7, v24
	v_fma_f16 v37, v11, v38, v51
	v_fma_f16 v43, v34, v48, v52
	v_mul_f16_e32 v13, v13, v48
	v_mul_f16_e32 v12, v12, v38
	v_sub_f16_e32 v14, v36, v40
	v_fma_f16 v16, v33, v27, -v16
	v_fma_f16 v2, v2, v22, -v15
	v_mul_f16_e32 v21, 0xbb47, v17
	v_add_f16_e32 v22, v1, v18
	v_fma_f16 v29, v20, s0, v10
	v_fma_f16 v38, v30, v46, v53
	v_mul_f16_e32 v7, v7, v46
	v_sub_f16_e32 v15, v37, v43
	v_fma_f16 v13, v34, v26, -v13
	v_fma_f16 v11, v11, v23, -v12
	v_mul_f16_e32 v23, 0xbbeb, v14
	v_add_f16_e32 v25, v2, v16
	v_fma_f16 v31, v22, s1, v21
	v_add_f16_e32 v29, v9, v29
	v_sub_f16_e32 v12, v38, v44
	v_mul_f16_e32 v26, 0xba0c, v15
	v_add_f16_e32 v27, v11, v13
	v_fma_f16 v32, v25, s2, v23
	v_add_f16_e32 v29, v29, v31
	v_fma_f16 v7, v30, v24, -v7
	v_mul_f16_e32 v28, 0xb482, v12
	v_fma_f16 v33, v27, s3, v26
	v_add_f16_e32 v29, v29, v32
	v_add_f16_e32 v24, v7, v8
	;; [unrolled: 1-line block ×3, first 2 shown]
	v_fma_f16 v30, v24, s4, v28
	v_sub_f16_e32 v31, v6, v19
	v_add_f16_e32 v29, v29, v30
	v_add_f16_e32 v30, v39, v42
	v_mul_f16_e32 v32, 0xb853, v31
	v_sub_f16_e32 v46, v1, v18
	v_fma_f16 v33, v30, s0, -v32
	v_add_f16_e32 v34, v35, v41
	v_mul_f16_e32 v47, 0xbb47, v46
	v_add_f16_e32 v33, v0, v33
	v_fma_f16 v48, v34, s1, -v47
	v_sub_f16_e32 v49, v2, v16
	v_add_f16_e32 v33, v33, v48
	v_add_f16_e32 v48, v36, v40
	v_mul_f16_e32 v50, 0xbbeb, v49
	v_fma_f16 v51, v48, s2, -v50
	v_sub_f16_e32 v52, v11, v13
	v_add_f16_e32 v33, v33, v51
	v_add_f16_e32 v51, v37, v43
	v_mul_f16_e32 v53, 0xba0c, v52
	;; [unrolled: 5-line block ×3, first 2 shown]
	v_fma_f16 v57, v54, s4, -v56
	v_add_f16_e32 v33, v33, v57
	v_mul_f16_e32 v57, 0xbb47, v45
	v_fma_f16 v58, v20, s1, v57
	v_mul_f16_e32 v59, 0xba0c, v17
	v_add_f16_e32 v58, v9, v58
	v_fma_f16 v60, v22, s3, v59
	v_add_f16_e32 v58, v58, v60
	v_mul_f16_e32 v60, 0x3482, v14
	v_fma_f16 v61, v25, s4, v60
	v_add_f16_e32 v58, v58, v61
	v_mul_f16_e32 v61, 0x3beb, v15
	v_fma_f16 v62, v27, s2, v61
	v_add_f16_e32 v58, v58, v62
	v_mul_f16_e32 v62, 0x3853, v12
	v_fma_f16 v63, v24, s0, v62
	v_add_f16_e32 v58, v58, v63
	v_mul_f16_e32 v63, 0xbb47, v31
	v_fma_f16 v64, v30, s1, -v63
	v_mul_f16_e32 v65, 0xba0c, v46
	v_add_f16_e32 v64, v0, v64
	v_fma_f16 v66, v34, s3, -v65
	v_add_f16_e32 v64, v64, v66
	v_mul_f16_e32 v66, 0x3482, v49
	v_fma_f16 v67, v48, s4, -v66
	v_add_f16_e32 v64, v64, v67
	v_mul_f16_e32 v67, 0x3beb, v52
	v_fma_f16 v68, v51, s2, -v67
	v_add_f16_e32 v64, v64, v68
	v_mul_f16_e32 v68, 0x3853, v55
	v_fma_f16 v69, v54, s0, -v68
	v_add_f16_e32 v64, v64, v69
	v_mul_f16_e32 v69, 0xbbeb, v45
	v_fma_f16 v70, v20, s2, v69
	v_mul_f16_e32 v71, 0x3482, v17
	v_add_f16_e32 v70, v9, v70
	v_fma_f16 v72, v22, s4, v71
	v_add_f16_e32 v70, v70, v72
	v_mul_f16_e32 v72, 0x3b47, v14
	v_fma_f16 v73, v25, s1, v72
	v_add_f16_e32 v70, v70, v73
	v_mul_f16_e32 v73, 0xb853, v15
	v_fma_f16 v74, v27, s0, v73
	v_add_f16_e32 v70, v70, v74
	v_mul_f16_e32 v74, 0xba0c, v12
	v_fma_f16 v75, v24, s3, v74
	v_add_f16_e32 v70, v70, v75
	v_mul_f16_e32 v75, 0xbbeb, v31
	v_fma_f16 v76, v30, s2, -v75
	v_mul_f16_e32 v77, 0x3482, v46
	v_add_f16_e32 v76, v0, v76
	v_fma_f16 v78, v34, s4, -v77
	v_add_f16_e32 v76, v76, v78
	v_mul_f16_e32 v78, 0x3b47, v49
	v_fma_f16 v79, v48, s1, -v78
	v_add_f16_e32 v76, v76, v79
	v_mul_f16_e32 v79, 0xb853, v52
	v_fma_f16 v80, v51, s0, -v79
	v_add_f16_e32 v76, v76, v80
	v_mul_f16_e32 v80, 0xba0c, v55
	;; [unrolled: 30-line block ×3, first 2 shown]
	v_fma_f16 v93, v54, s1, -v92
	v_mul_f16_e32 v45, 0xb482, v45
	v_add_f16_e32 v88, v88, v93
	v_fma_f16 v93, v20, s4, v45
	v_mul_f16_e32 v17, 0x3853, v17
	v_fma_f16 v45, v20, s4, -v45
	v_add_f16_e32 v93, v9, v93
	v_fma_f16 v94, v22, s0, v17
	v_mul_f16_e32 v14, 0xba0c, v14
	v_add_f16_e32 v45, v9, v45
	v_fma_f16 v17, v22, s0, -v17
	v_add_f16_e32 v93, v93, v94
	v_fma_f16 v94, v25, s3, v14
	v_mul_f16_e32 v15, 0x3b47, v15
	v_add_f16_e32 v17, v45, v17
	v_fma_f16 v14, v25, s3, -v14
	v_add_f16_e32 v93, v93, v94
	v_fma_f16 v94, v27, s1, v15
	v_mul_f16_e32 v12, 0xbbeb, v12
	v_add_f16_e32 v14, v17, v14
	v_fma_f16 v15, v27, s1, -v15
	v_add_f16_e32 v93, v93, v94
	v_fma_f16 v94, v24, s2, v12
	v_mul_f16_e32 v31, 0xb482, v31
	v_add_f16_e32 v14, v14, v15
	v_fma_f16 v12, v24, s2, -v12
	v_mul_f16_e32 v46, 0x3853, v46
	v_add_f16_e32 v12, v14, v12
	v_fma_f16 v14, v30, s4, v31
	v_mul_f16_e32 v49, 0xba0c, v49
	v_add_f16_e32 v14, v0, v14
	v_fma_f16 v15, v34, s0, v46
	;; [unrolled: 3-line block ×4, first 2 shown]
	v_add_f16_e32 v14, v14, v15
	v_fma_f16 v15, v54, s2, v55
	v_add_f16_e32 v14, v14, v15
	v_fma_f16 v15, v20, s3, -v81
	v_add_f16_e32 v15, v9, v15
	v_fma_f16 v17, v22, s2, -v83
	;; [unrolled: 2-line block ×5, first 2 shown]
	v_add_f16_e32 v15, v15, v17
	v_fma_f16 v17, v30, s3, v87
	v_add_f16_e32 v93, v93, v94
	v_fma_f16 v94, v30, s4, -v31
	v_add_f16_e32 v17, v0, v17
	v_fma_f16 v31, v34, s2, v89
	v_add_f16_e32 v17, v17, v31
	v_fma_f16 v31, v48, s0, v90
	;; [unrolled: 2-line block ×4, first 2 shown]
	v_add_f16_e32 v17, v17, v31
	v_fma_f16 v31, v20, s2, -v69
	v_add_f16_e32 v31, v9, v31
	v_fma_f16 v45, v22, s4, -v71
	;; [unrolled: 2-line block ×5, first 2 shown]
	v_add_f16_e32 v31, v31, v45
	v_fma_f16 v45, v30, s2, v75
	v_fma_f16 v95, v34, s0, -v46
	v_add_f16_e32 v45, v0, v45
	v_fma_f16 v46, v34, s4, v77
	v_add_f16_e32 v45, v45, v46
	v_fma_f16 v46, v48, s1, v78
	;; [unrolled: 2-line block ×4, first 2 shown]
	v_add_f16_e32 v94, v0, v94
	v_add_f16_e32 v45, v45, v46
	v_fma_f16 v46, v20, s1, -v57
	v_fma_f16 v10, v20, s0, -v10
	v_add_f16_e32 v94, v94, v95
	v_fma_f16 v95, v48, s3, -v49
	v_add_f16_e32 v46, v9, v46
	v_fma_f16 v49, v22, s3, -v59
	v_fma_f16 v20, v22, s1, -v21
	v_add_f16_e32 v10, v9, v10
	v_add_f16_e32 v46, v46, v49
	v_fma_f16 v49, v25, s4, -v60
	v_add_f16_e32 v10, v10, v20
	v_fma_f16 v20, v25, s2, -v23
	;; [unrolled: 2-line block ×6, first 2 shown]
	v_add_f16_e32 v46, v46, v49
	v_fma_f16 v49, v30, s1, v63
	v_add_f16_e32 v10, v10, v20
	v_fma_f16 v20, v30, s0, v32
	v_add_f16_e32 v49, v0, v49
	v_add_f16_e32 v20, v0, v20
	;; [unrolled: 1-line block ×7, first 2 shown]
	v_fma_f16 v21, v34, s1, v47
	v_add_f16_e32 v0, v0, v44
	v_add_f16_e32 v20, v20, v21
	v_fma_f16 v21, v48, s2, v50
	v_add_f16_e32 v0, v43, v0
	v_add_f16_e32 v20, v20, v21
	;; [unrolled: 3-line block ×4, first 2 shown]
	v_fma_f16 v95, v51, s1, -v52
	v_fma_f16 v52, v34, s3, v65
	v_add_f16_e32 v20, v20, v21
	v_add_f16_e32 v21, v42, v0
	;; [unrolled: 1-line block ×4, first 2 shown]
	v_fma_f16 v52, v48, s4, v66
	v_add_f16_e32 v0, v0, v1
	v_add_f16_e32 v49, v49, v52
	v_fma_f16 v52, v51, s2, v67
	v_add_f16_e32 v0, v0, v2
	v_add_f16_e32 v49, v49, v52
	v_fma_f16 v52, v54, s0, v68
	v_add_f16_e32 v2, v0, v11
	v_mad_u64_u32 v[0:1], s[0:1], s12, v5, 0
	v_add_f16_e32 v2, v2, v7
	v_add_f16_e32 v2, v2, v8
	;; [unrolled: 1-line block ×3, first 2 shown]
	v_mad_u64_u32 v[1:2], s[0:1], s13, v5, v[1:2]
	v_add_f16_e32 v2, v16, v6
	v_add_f16_e32 v2, v18, v2
	;; [unrolled: 1-line block ×3, first 2 shown]
	v_mov_b32_e32 v2, s15
	v_add_co_u32_e32 v8, vcc, s14, v3
	v_addc_co_u32_e32 v9, vcc, v2, v4, vcc
	v_add_u32_e32 v4, 48, v5
	v_mad_u64_u32 v[2:3], s[0:1], s12, v4, 0
	v_lshlrev_b64 v[0:1], 2, v[0:1]
	v_pack_b32_f16 v11, v21, v6
	v_mad_u64_u32 v[3:4], s[0:1], s13, v4, v[3:4]
	v_add_u32_e32 v4, 0x60, v5
	v_mad_u64_u32 v[6:7], s[0:1], s12, v4, 0
	v_add_co_u32_e32 v0, vcc, v8, v0
	v_addc_co_u32_e32 v1, vcc, v9, v1, vcc
	global_store_dword v[0:1], v11, off
	v_lshlrev_b64 v[0:1], 2, v[2:3]
	v_mov_b32_e32 v2, v7
	v_mad_u64_u32 v[2:3], s[0:1], s13, v4, v[2:3]
	v_add_co_u32_e32 v0, vcc, v8, v0
	v_addc_co_u32_e32 v1, vcc, v9, v1, vcc
	v_pack_b32_f16 v3, v20, v10
	v_add_u32_e32 v4, 0x90, v5
	global_store_dword v[0:1], v3, off
	v_mov_b32_e32 v7, v2
	v_mad_u64_u32 v[2:3], s[0:1], s12, v4, 0
	v_lshlrev_b64 v[0:1], 2, v[6:7]
	v_add_f16_e32 v49, v49, v52
	v_mad_u64_u32 v[3:4], s[0:1], s13, v4, v[3:4]
	v_or_b32_e32 v4, 0xc0, v5
	v_mad_u64_u32 v[6:7], s[0:1], s12, v4, 0
	v_add_co_u32_e32 v0, vcc, v8, v0
	v_addc_co_u32_e32 v1, vcc, v9, v1, vcc
	v_pack_b32_f16 v10, v49, v46
	global_store_dword v[0:1], v10, off
	v_lshlrev_b64 v[0:1], 2, v[2:3]
	v_mov_b32_e32 v2, v7
	v_mad_u64_u32 v[2:3], s[0:1], s13, v4, v[2:3]
	v_add_co_u32_e32 v0, vcc, v8, v0
	v_addc_co_u32_e32 v1, vcc, v9, v1, vcc
	v_pack_b32_f16 v3, v45, v31
	v_add_u32_e32 v4, 0xf0, v5
	global_store_dword v[0:1], v3, off
	v_mov_b32_e32 v7, v2
	v_mad_u64_u32 v[2:3], s[0:1], s12, v4, 0
	v_lshlrev_b64 v[0:1], 2, v[6:7]
	v_pack_b32_f16 v10, v17, v15
	v_mad_u64_u32 v[3:4], s[0:1], s13, v4, v[3:4]
	v_add_u32_e32 v4, 0x120, v5
	v_mad_u64_u32 v[6:7], s[0:1], s12, v4, 0
	v_add_co_u32_e32 v0, vcc, v8, v0
	v_addc_co_u32_e32 v1, vcc, v9, v1, vcc
	global_store_dword v[0:1], v10, off
	v_lshlrev_b64 v[0:1], 2, v[2:3]
	v_mov_b32_e32 v2, v7
	v_mad_u64_u32 v[2:3], s[0:1], s13, v4, v[2:3]
	v_add_co_u32_e32 v0, vcc, v8, v0
	v_addc_co_u32_e32 v1, vcc, v9, v1, vcc
	v_pack_b32_f16 v3, v14, v12
	v_add_u32_e32 v4, 0x150, v5
	global_store_dword v[0:1], v3, off
	v_mov_b32_e32 v7, v2
	v_mad_u64_u32 v[2:3], s[0:1], s12, v4, 0
	v_lshlrev_b64 v[0:1], 2, v[6:7]
	v_add_f16_e32 v94, v94, v95
	v_mad_u64_u32 v[3:4], s[0:1], s13, v4, v[3:4]
	v_or_b32_e32 v4, 0x180, v5
	v_mad_u64_u32 v[6:7], s[0:1], s12, v4, 0
	v_fma_f16 v95, v54, s2, -v55
	v_add_f16_e32 v94, v94, v95
	v_add_co_u32_e32 v0, vcc, v8, v0
	v_addc_co_u32_e32 v1, vcc, v9, v1, vcc
	v_pack_b32_f16 v10, v94, v93
	global_store_dword v[0:1], v10, off
	v_lshlrev_b64 v[0:1], 2, v[2:3]
	v_mov_b32_e32 v2, v7
	v_mad_u64_u32 v[2:3], s[0:1], s13, v4, v[2:3]
	v_add_co_u32_e32 v0, vcc, v8, v0
	v_addc_co_u32_e32 v1, vcc, v9, v1, vcc
	v_pack_b32_f16 v3, v88, v82
	v_add_u32_e32 v4, 0x1b0, v5
	global_store_dword v[0:1], v3, off
	v_mov_b32_e32 v7, v2
	v_mad_u64_u32 v[2:3], s[0:1], s12, v4, 0
	v_lshlrev_b64 v[0:1], 2, v[6:7]
	v_add_u32_e32 v7, 0x1e0, v5
	v_mad_u64_u32 v[3:4], s[0:1], s13, v4, v[3:4]
	v_mad_u64_u32 v[4:5], s[0:1], s12, v7, 0
	v_add_co_u32_e32 v0, vcc, v8, v0
	v_addc_co_u32_e32 v1, vcc, v9, v1, vcc
	v_pack_b32_f16 v6, v76, v70
	global_store_dword v[0:1], v6, off
	v_lshlrev_b64 v[0:1], 2, v[2:3]
	v_mov_b32_e32 v2, v5
	v_mad_u64_u32 v[2:3], s[0:1], s13, v7, v[2:3]
	v_add_co_u32_e32 v0, vcc, v8, v0
	v_addc_co_u32_e32 v1, vcc, v9, v1, vcc
	v_pack_b32_f16 v3, v64, v58
	v_mov_b32_e32 v5, v2
	global_store_dword v[0:1], v3, off
	v_lshlrev_b64 v[0:1], 2, v[4:5]
	v_pack_b32_f16 v2, v33, v29
	v_add_co_u32_e32 v0, vcc, v8, v0
	v_addc_co_u32_e32 v1, vcc, v9, v1, vcc
	global_store_dword v[0:1], v2, off
.LBB0_37:
	s_endpgm
	.section	.rodata,"a",@progbits
	.p2align	6, 0x0
	.amdhsa_kernel fft_rtc_back_len528_factors_4_4_3_11_wgs_48_tpt_48_halfLds_half_ip_CI_sbrr_dirReg
		.amdhsa_group_segment_fixed_size 0
		.amdhsa_private_segment_fixed_size 0
		.amdhsa_kernarg_size 88
		.amdhsa_user_sgpr_count 6
		.amdhsa_user_sgpr_private_segment_buffer 1
		.amdhsa_user_sgpr_dispatch_ptr 0
		.amdhsa_user_sgpr_queue_ptr 0
		.amdhsa_user_sgpr_kernarg_segment_ptr 1
		.amdhsa_user_sgpr_dispatch_id 0
		.amdhsa_user_sgpr_flat_scratch_init 0
		.amdhsa_user_sgpr_private_segment_size 0
		.amdhsa_uses_dynamic_stack 0
		.amdhsa_system_sgpr_private_segment_wavefront_offset 0
		.amdhsa_system_sgpr_workgroup_id_x 1
		.amdhsa_system_sgpr_workgroup_id_y 0
		.amdhsa_system_sgpr_workgroup_id_z 0
		.amdhsa_system_sgpr_workgroup_info 0
		.amdhsa_system_vgpr_workitem_id 0
		.amdhsa_next_free_vgpr 96
		.amdhsa_next_free_sgpr 24
		.amdhsa_reserve_vcc 1
		.amdhsa_reserve_flat_scratch 0
		.amdhsa_float_round_mode_32 0
		.amdhsa_float_round_mode_16_64 0
		.amdhsa_float_denorm_mode_32 3
		.amdhsa_float_denorm_mode_16_64 3
		.amdhsa_dx10_clamp 1
		.amdhsa_ieee_mode 1
		.amdhsa_fp16_overflow 0
		.amdhsa_exception_fp_ieee_invalid_op 0
		.amdhsa_exception_fp_denorm_src 0
		.amdhsa_exception_fp_ieee_div_zero 0
		.amdhsa_exception_fp_ieee_overflow 0
		.amdhsa_exception_fp_ieee_underflow 0
		.amdhsa_exception_fp_ieee_inexact 0
		.amdhsa_exception_int_div_zero 0
	.end_amdhsa_kernel
	.text
.Lfunc_end0:
	.size	fft_rtc_back_len528_factors_4_4_3_11_wgs_48_tpt_48_halfLds_half_ip_CI_sbrr_dirReg, .Lfunc_end0-fft_rtc_back_len528_factors_4_4_3_11_wgs_48_tpt_48_halfLds_half_ip_CI_sbrr_dirReg
                                        ; -- End function
	.section	.AMDGPU.csdata,"",@progbits
; Kernel info:
; codeLenInByte = 7980
; NumSgprs: 28
; NumVgprs: 96
; ScratchSize: 0
; MemoryBound: 0
; FloatMode: 240
; IeeeMode: 1
; LDSByteSize: 0 bytes/workgroup (compile time only)
; SGPRBlocks: 3
; VGPRBlocks: 23
; NumSGPRsForWavesPerEU: 28
; NumVGPRsForWavesPerEU: 96
; Occupancy: 2
; WaveLimiterHint : 1
; COMPUTE_PGM_RSRC2:SCRATCH_EN: 0
; COMPUTE_PGM_RSRC2:USER_SGPR: 6
; COMPUTE_PGM_RSRC2:TRAP_HANDLER: 0
; COMPUTE_PGM_RSRC2:TGID_X_EN: 1
; COMPUTE_PGM_RSRC2:TGID_Y_EN: 0
; COMPUTE_PGM_RSRC2:TGID_Z_EN: 0
; COMPUTE_PGM_RSRC2:TIDIG_COMP_CNT: 0
	.type	__hip_cuid_5bb419d6ff04a0,@object ; @__hip_cuid_5bb419d6ff04a0
	.section	.bss,"aw",@nobits
	.globl	__hip_cuid_5bb419d6ff04a0
__hip_cuid_5bb419d6ff04a0:
	.byte	0                               ; 0x0
	.size	__hip_cuid_5bb419d6ff04a0, 1

	.ident	"AMD clang version 19.0.0git (https://github.com/RadeonOpenCompute/llvm-project roc-6.4.0 25133 c7fe45cf4b819c5991fe208aaa96edf142730f1d)"
	.section	".note.GNU-stack","",@progbits
	.addrsig
	.addrsig_sym __hip_cuid_5bb419d6ff04a0
	.amdgpu_metadata
---
amdhsa.kernels:
  - .args:
      - .actual_access:  read_only
        .address_space:  global
        .offset:         0
        .size:           8
        .value_kind:     global_buffer
      - .offset:         8
        .size:           8
        .value_kind:     by_value
      - .actual_access:  read_only
        .address_space:  global
        .offset:         16
        .size:           8
        .value_kind:     global_buffer
      - .actual_access:  read_only
        .address_space:  global
        .offset:         24
        .size:           8
        .value_kind:     global_buffer
      - .offset:         32
        .size:           8
        .value_kind:     by_value
      - .actual_access:  read_only
        .address_space:  global
        .offset:         40
        .size:           8
        .value_kind:     global_buffer
      - .actual_access:  read_only
        .address_space:  global
        .offset:         48
        .size:           8
        .value_kind:     global_buffer
      - .offset:         56
        .size:           4
        .value_kind:     by_value
      - .actual_access:  read_only
        .address_space:  global
        .offset:         64
        .size:           8
        .value_kind:     global_buffer
      - .actual_access:  read_only
        .address_space:  global
        .offset:         72
        .size:           8
        .value_kind:     global_buffer
      - .address_space:  global
        .offset:         80
        .size:           8
        .value_kind:     global_buffer
    .group_segment_fixed_size: 0
    .kernarg_segment_align: 8
    .kernarg_segment_size: 88
    .language:       OpenCL C
    .language_version:
      - 2
      - 0
    .max_flat_workgroup_size: 48
    .name:           fft_rtc_back_len528_factors_4_4_3_11_wgs_48_tpt_48_halfLds_half_ip_CI_sbrr_dirReg
    .private_segment_fixed_size: 0
    .sgpr_count:     28
    .sgpr_spill_count: 0
    .symbol:         fft_rtc_back_len528_factors_4_4_3_11_wgs_48_tpt_48_halfLds_half_ip_CI_sbrr_dirReg.kd
    .uniform_work_group_size: 1
    .uses_dynamic_stack: false
    .vgpr_count:     96
    .vgpr_spill_count: 0
    .wavefront_size: 64
amdhsa.target:   amdgcn-amd-amdhsa--gfx906
amdhsa.version:
  - 1
  - 2
...

	.end_amdgpu_metadata
